;; amdgpu-corpus repo=ROCm/rocFFT kind=compiled arch=gfx1030 opt=O3
	.text
	.amdgcn_target "amdgcn-amd-amdhsa--gfx1030"
	.amdhsa_code_object_version 6
	.protected	fft_rtc_fwd_len1210_factors_2_5_11_11_wgs_110_tpt_110_halfLds_sp_op_CI_CI_unitstride_sbrr_C2R_dirReg ; -- Begin function fft_rtc_fwd_len1210_factors_2_5_11_11_wgs_110_tpt_110_halfLds_sp_op_CI_CI_unitstride_sbrr_C2R_dirReg
	.globl	fft_rtc_fwd_len1210_factors_2_5_11_11_wgs_110_tpt_110_halfLds_sp_op_CI_CI_unitstride_sbrr_C2R_dirReg
	.p2align	8
	.type	fft_rtc_fwd_len1210_factors_2_5_11_11_wgs_110_tpt_110_halfLds_sp_op_CI_CI_unitstride_sbrr_C2R_dirReg,@function
fft_rtc_fwd_len1210_factors_2_5_11_11_wgs_110_tpt_110_halfLds_sp_op_CI_CI_unitstride_sbrr_C2R_dirReg: ; @fft_rtc_fwd_len1210_factors_2_5_11_11_wgs_110_tpt_110_halfLds_sp_op_CI_CI_unitstride_sbrr_C2R_dirReg
; %bb.0:
	s_clause 0x2
	s_load_dwordx4 s[12:15], s[4:5], 0x0
	s_load_dwordx4 s[8:11], s[4:5], 0x58
	;; [unrolled: 1-line block ×3, first 2 shown]
	v_mul_u32_u24_e32 v1, 0x254, v0
	v_mov_b32_e32 v3, 0
	v_add_nc_u32_sdwa v5, s6, v1 dst_sel:DWORD dst_unused:UNUSED_PAD src0_sel:DWORD src1_sel:WORD_1
	v_mov_b32_e32 v1, 0
	v_mov_b32_e32 v6, v3
	v_mov_b32_e32 v2, 0
	s_waitcnt lgkmcnt(0)
	v_cmp_lt_u64_e64 s0, s[14:15], 2
	s_and_b32 vcc_lo, exec_lo, s0
	s_cbranch_vccnz .LBB0_8
; %bb.1:
	s_load_dwordx2 s[0:1], s[4:5], 0x10
	v_mov_b32_e32 v1, 0
	v_mov_b32_e32 v2, 0
	s_add_u32 s2, s18, 8
	s_addc_u32 s3, s19, 0
	s_add_u32 s6, s16, 8
	s_addc_u32 s7, s17, 0
	v_mov_b32_e32 v41, v2
	v_mov_b32_e32 v40, v1
	s_mov_b64 s[22:23], 1
	s_waitcnt lgkmcnt(0)
	s_add_u32 s20, s0, 8
	s_addc_u32 s21, s1, 0
.LBB0_2:                                ; =>This Inner Loop Header: Depth=1
	s_load_dwordx2 s[24:25], s[20:21], 0x0
                                        ; implicit-def: $vgpr42_vgpr43
	s_mov_b32 s0, exec_lo
	s_waitcnt lgkmcnt(0)
	v_or_b32_e32 v4, s25, v6
	v_cmpx_ne_u64_e32 0, v[3:4]
	s_xor_b32 s1, exec_lo, s0
	s_cbranch_execz .LBB0_4
; %bb.3:                                ;   in Loop: Header=BB0_2 Depth=1
	v_cvt_f32_u32_e32 v4, s24
	v_cvt_f32_u32_e32 v7, s25
	s_sub_u32 s0, 0, s24
	s_subb_u32 s26, 0, s25
	v_fmac_f32_e32 v4, 0x4f800000, v7
	v_rcp_f32_e32 v4, v4
	v_mul_f32_e32 v4, 0x5f7ffffc, v4
	v_mul_f32_e32 v7, 0x2f800000, v4
	v_trunc_f32_e32 v7, v7
	v_fmac_f32_e32 v4, 0xcf800000, v7
	v_cvt_u32_f32_e32 v7, v7
	v_cvt_u32_f32_e32 v4, v4
	v_mul_lo_u32 v8, s0, v7
	v_mul_hi_u32 v9, s0, v4
	v_mul_lo_u32 v10, s26, v4
	v_add_nc_u32_e32 v8, v9, v8
	v_mul_lo_u32 v9, s0, v4
	v_add_nc_u32_e32 v8, v8, v10
	v_mul_hi_u32 v10, v4, v9
	v_mul_lo_u32 v11, v4, v8
	v_mul_hi_u32 v12, v4, v8
	v_mul_hi_u32 v13, v7, v9
	v_mul_lo_u32 v9, v7, v9
	v_mul_hi_u32 v14, v7, v8
	v_mul_lo_u32 v8, v7, v8
	v_add_co_u32 v10, vcc_lo, v10, v11
	v_add_co_ci_u32_e32 v11, vcc_lo, 0, v12, vcc_lo
	v_add_co_u32 v9, vcc_lo, v10, v9
	v_add_co_ci_u32_e32 v9, vcc_lo, v11, v13, vcc_lo
	v_add_co_ci_u32_e32 v10, vcc_lo, 0, v14, vcc_lo
	v_add_co_u32 v8, vcc_lo, v9, v8
	v_add_co_ci_u32_e32 v9, vcc_lo, 0, v10, vcc_lo
	v_add_co_u32 v4, vcc_lo, v4, v8
	v_add_co_ci_u32_e32 v7, vcc_lo, v7, v9, vcc_lo
	v_mul_hi_u32 v8, s0, v4
	v_mul_lo_u32 v10, s26, v4
	v_mul_lo_u32 v9, s0, v7
	v_add_nc_u32_e32 v8, v8, v9
	v_mul_lo_u32 v9, s0, v4
	v_add_nc_u32_e32 v8, v8, v10
	v_mul_hi_u32 v10, v4, v9
	v_mul_lo_u32 v11, v4, v8
	v_mul_hi_u32 v12, v4, v8
	v_mul_hi_u32 v13, v7, v9
	v_mul_lo_u32 v9, v7, v9
	v_mul_hi_u32 v14, v7, v8
	v_mul_lo_u32 v8, v7, v8
	v_add_co_u32 v10, vcc_lo, v10, v11
	v_add_co_ci_u32_e32 v11, vcc_lo, 0, v12, vcc_lo
	v_add_co_u32 v9, vcc_lo, v10, v9
	v_add_co_ci_u32_e32 v9, vcc_lo, v11, v13, vcc_lo
	v_add_co_ci_u32_e32 v10, vcc_lo, 0, v14, vcc_lo
	v_add_co_u32 v8, vcc_lo, v9, v8
	v_add_co_ci_u32_e32 v9, vcc_lo, 0, v10, vcc_lo
	v_add_co_u32 v4, vcc_lo, v4, v8
	v_add_co_ci_u32_e32 v11, vcc_lo, v7, v9, vcc_lo
	v_mul_hi_u32 v13, v5, v4
	v_mad_u64_u32 v[9:10], null, v6, v4, 0
	v_mad_u64_u32 v[7:8], null, v5, v11, 0
	;; [unrolled: 1-line block ×3, first 2 shown]
	v_add_co_u32 v4, vcc_lo, v13, v7
	v_add_co_ci_u32_e32 v7, vcc_lo, 0, v8, vcc_lo
	v_add_co_u32 v4, vcc_lo, v4, v9
	v_add_co_ci_u32_e32 v4, vcc_lo, v7, v10, vcc_lo
	v_add_co_ci_u32_e32 v7, vcc_lo, 0, v12, vcc_lo
	v_add_co_u32 v4, vcc_lo, v4, v11
	v_add_co_ci_u32_e32 v9, vcc_lo, 0, v7, vcc_lo
	v_mul_lo_u32 v10, s25, v4
	v_mad_u64_u32 v[7:8], null, s24, v4, 0
	v_mul_lo_u32 v11, s24, v9
	v_sub_co_u32 v7, vcc_lo, v5, v7
	v_add3_u32 v8, v8, v11, v10
	v_sub_nc_u32_e32 v10, v6, v8
	v_subrev_co_ci_u32_e64 v10, s0, s25, v10, vcc_lo
	v_add_co_u32 v11, s0, v4, 2
	v_add_co_ci_u32_e64 v12, s0, 0, v9, s0
	v_sub_co_u32 v13, s0, v7, s24
	v_sub_co_ci_u32_e32 v8, vcc_lo, v6, v8, vcc_lo
	v_subrev_co_ci_u32_e64 v10, s0, 0, v10, s0
	v_cmp_le_u32_e32 vcc_lo, s24, v13
	v_cmp_eq_u32_e64 s0, s25, v8
	v_cndmask_b32_e64 v13, 0, -1, vcc_lo
	v_cmp_le_u32_e32 vcc_lo, s25, v10
	v_cndmask_b32_e64 v14, 0, -1, vcc_lo
	v_cmp_le_u32_e32 vcc_lo, s24, v7
	;; [unrolled: 2-line block ×3, first 2 shown]
	v_cndmask_b32_e64 v15, 0, -1, vcc_lo
	v_cmp_eq_u32_e32 vcc_lo, s25, v10
	v_cndmask_b32_e64 v7, v15, v7, s0
	v_cndmask_b32_e32 v10, v14, v13, vcc_lo
	v_add_co_u32 v13, vcc_lo, v4, 1
	v_add_co_ci_u32_e32 v14, vcc_lo, 0, v9, vcc_lo
	v_cmp_ne_u32_e32 vcc_lo, 0, v10
	v_cndmask_b32_e32 v8, v14, v12, vcc_lo
	v_cndmask_b32_e32 v10, v13, v11, vcc_lo
	v_cmp_ne_u32_e32 vcc_lo, 0, v7
	v_cndmask_b32_e32 v43, v9, v8, vcc_lo
	v_cndmask_b32_e32 v42, v4, v10, vcc_lo
.LBB0_4:                                ;   in Loop: Header=BB0_2 Depth=1
	s_andn2_saveexec_b32 s0, s1
	s_cbranch_execz .LBB0_6
; %bb.5:                                ;   in Loop: Header=BB0_2 Depth=1
	v_cvt_f32_u32_e32 v4, s24
	s_sub_i32 s1, 0, s24
	v_mov_b32_e32 v43, v3
	v_rcp_iflag_f32_e32 v4, v4
	v_mul_f32_e32 v4, 0x4f7ffffe, v4
	v_cvt_u32_f32_e32 v4, v4
	v_mul_lo_u32 v7, s1, v4
	v_mul_hi_u32 v7, v4, v7
	v_add_nc_u32_e32 v4, v4, v7
	v_mul_hi_u32 v4, v5, v4
	v_mul_lo_u32 v7, v4, s24
	v_add_nc_u32_e32 v8, 1, v4
	v_sub_nc_u32_e32 v7, v5, v7
	v_subrev_nc_u32_e32 v9, s24, v7
	v_cmp_le_u32_e32 vcc_lo, s24, v7
	v_cndmask_b32_e32 v7, v7, v9, vcc_lo
	v_cndmask_b32_e32 v4, v4, v8, vcc_lo
	v_cmp_le_u32_e32 vcc_lo, s24, v7
	v_add_nc_u32_e32 v8, 1, v4
	v_cndmask_b32_e32 v42, v4, v8, vcc_lo
.LBB0_6:                                ;   in Loop: Header=BB0_2 Depth=1
	s_or_b32 exec_lo, exec_lo, s0
	v_mul_lo_u32 v4, v43, s24
	v_mul_lo_u32 v9, v42, s25
	s_load_dwordx2 s[0:1], s[6:7], 0x0
	v_mad_u64_u32 v[7:8], null, v42, s24, 0
	s_load_dwordx2 s[24:25], s[2:3], 0x0
	s_add_u32 s22, s22, 1
	s_addc_u32 s23, s23, 0
	s_add_u32 s2, s2, 8
	s_addc_u32 s3, s3, 0
	s_add_u32 s6, s6, 8
	v_add3_u32 v4, v8, v9, v4
	v_sub_co_u32 v5, vcc_lo, v5, v7
	s_addc_u32 s7, s7, 0
	s_add_u32 s20, s20, 8
	v_sub_co_ci_u32_e32 v4, vcc_lo, v6, v4, vcc_lo
	s_addc_u32 s21, s21, 0
	s_waitcnt lgkmcnt(0)
	v_mul_lo_u32 v6, s0, v4
	v_mul_lo_u32 v7, s1, v5
	v_mad_u64_u32 v[1:2], null, s0, v5, v[1:2]
	v_mul_lo_u32 v4, s24, v4
	v_mul_lo_u32 v8, s25, v5
	v_mad_u64_u32 v[40:41], null, s24, v5, v[40:41]
	v_cmp_ge_u64_e64 s0, s[22:23], s[14:15]
	v_add3_u32 v2, v7, v2, v6
	v_add3_u32 v41, v8, v41, v4
	s_and_b32 vcc_lo, exec_lo, s0
	s_cbranch_vccnz .LBB0_9
; %bb.7:                                ;   in Loop: Header=BB0_2 Depth=1
	v_mov_b32_e32 v5, v42
	v_mov_b32_e32 v6, v43
	s_branch .LBB0_2
.LBB0_8:
	v_mov_b32_e32 v41, v2
	v_mov_b32_e32 v43, v6
	;; [unrolled: 1-line block ×4, first 2 shown]
.LBB0_9:
	s_load_dwordx2 s[0:1], s[4:5], 0x28
	v_mul_hi_u32 v3, 0x253c826, v0
	s_lshl_b64 s[4:5], s[14:15], 3
                                        ; implicit-def: $vgpr44
	s_add_u32 s2, s18, s4
	s_addc_u32 s3, s19, s5
	s_waitcnt lgkmcnt(0)
	v_cmp_gt_u64_e32 vcc_lo, s[0:1], v[42:43]
	v_cmp_le_u64_e64 s0, s[0:1], v[42:43]
	s_and_saveexec_b32 s1, s0
	s_xor_b32 s0, exec_lo, s1
; %bb.10:
	v_mul_u32_u24_e32 v1, 0x6e, v3
                                        ; implicit-def: $vgpr3
	v_sub_nc_u32_e32 v44, v0, v1
                                        ; implicit-def: $vgpr0
                                        ; implicit-def: $vgpr1_vgpr2
; %bb.11:
	s_or_saveexec_b32 s1, s0
	s_load_dwordx2 s[2:3], s[2:3], 0x0
	s_xor_b32 exec_lo, exec_lo, s1
	s_cbranch_execz .LBB0_15
; %bb.12:
	s_add_u32 s4, s16, s4
	s_addc_u32 s5, s17, s5
	v_lshlrev_b64 v[1:2], 3, v[1:2]
	s_load_dwordx2 s[4:5], s[4:5], 0x0
	s_waitcnt lgkmcnt(0)
	v_mul_lo_u32 v6, s5, v42
	v_mul_lo_u32 v7, s4, v43
	v_mad_u64_u32 v[4:5], null, s4, v42, 0
	s_mov_b32 s4, exec_lo
	v_add3_u32 v5, v5, v7, v6
	v_mul_u32_u24_e32 v6, 0x6e, v3
	v_lshlrev_b64 v[3:4], 3, v[4:5]
	v_sub_nc_u32_e32 v44, v0, v6
	v_lshlrev_b32_e32 v24, 3, v44
	v_add_co_u32 v0, s0, s8, v3
	v_add_co_ci_u32_e64 v3, s0, s9, v4, s0
	v_add_co_u32 v0, s0, v0, v1
	v_add_co_ci_u32_e64 v1, s0, v3, v2, s0
	;; [unrolled: 2-line block ×3, first 2 shown]
	v_add_nc_u32_e32 v24, 0, v24
	v_add_co_u32 v4, s0, 0x800, v2
	v_add_co_ci_u32_e64 v5, s0, 0, v3, s0
	v_add_co_u32 v6, s0, 0x1000, v2
	v_add_co_ci_u32_e64 v7, s0, 0, v3, s0
	;; [unrolled: 2-line block ×4, first 2 shown]
	s_clause 0xa
	global_load_dwordx2 v[12:13], v[2:3], off
	global_load_dwordx2 v[14:15], v[2:3], off offset:880
	global_load_dwordx2 v[2:3], v[2:3], off offset:1760
	;; [unrolled: 1-line block ×10, first 2 shown]
	v_add_nc_u32_e32 v25, 0x400, v24
	v_add_nc_u32_e32 v26, 0xc00, v24
	;; [unrolled: 1-line block ×4, first 2 shown]
	s_waitcnt vmcnt(9)
	ds_write2_b64 v24, v[12:13], v[14:15] offset1:110
	s_waitcnt vmcnt(7)
	ds_write2_b64 v25, v[2:3], v[16:17] offset0:92 offset1:202
	s_waitcnt vmcnt(5)
	ds_write2_b64 v26, v[4:5], v[18:19] offset0:56 offset1:166
	;; [unrolled: 2-line block ×4, first 2 shown]
	s_waitcnt vmcnt(0)
	ds_write_b64 v24, v[10:11] offset:8800
	v_cmpx_eq_u32_e32 0x6d, v44
	s_cbranch_execz .LBB0_14
; %bb.13:
	v_add_co_u32 v0, s0, 0x2000, v0
	v_add_co_ci_u32_e64 v1, s0, 0, v1, s0
	v_mov_b32_e32 v2, 0
	v_mov_b32_e32 v44, 0x6d
	global_load_dwordx2 v[0:1], v[0:1], off offset:1488
	s_waitcnt vmcnt(0)
	ds_write_b64 v2, v[0:1] offset:9680
.LBB0_14:
	s_or_b32 exec_lo, exec_lo, s4
.LBB0_15:
	s_or_b32 exec_lo, exec_lo, s1
	v_lshlrev_b32_e32 v4, 3, v44
	s_waitcnt lgkmcnt(0)
	s_barrier
	buffer_gl0_inv
	s_add_u32 s1, s12, 0x25c0
	v_add_nc_u32_e32 v47, 0, v4
	v_sub_nc_u32_e32 v5, 0, v4
	s_addc_u32 s4, s13, 0
	s_mov_b32 s5, exec_lo
                                        ; implicit-def: $vgpr0_vgpr1
	ds_read_b32 v6, v47
	ds_read_b32 v7, v5 offset:9680
	s_waitcnt lgkmcnt(0)
	v_add_f32_e32 v2, v7, v6
	v_sub_f32_e32 v3, v6, v7
	v_cmpx_ne_u32_e32 0, v44
	s_xor_b32 s5, exec_lo, s5
	s_cbranch_execz .LBB0_17
; %bb.16:
	v_mov_b32_e32 v45, 0
	v_add_f32_e32 v8, v7, v6
	v_sub_f32_e32 v9, v6, v7
	v_lshlrev_b64 v[0:1], 3, v[44:45]
	v_add_co_u32 v0, s0, s1, v0
	v_add_co_ci_u32_e64 v1, s0, s4, v1, s0
	global_load_dwordx2 v[0:1], v[0:1], off
	ds_read_b32 v2, v5 offset:9684
	ds_read_b32 v3, v47 offset:4
	s_waitcnt lgkmcnt(0)
	v_add_f32_e32 v10, v2, v3
	v_sub_f32_e32 v2, v3, v2
	s_waitcnt vmcnt(0)
	v_fma_f32 v6, -v9, v1, v8
	v_fma_f32 v7, v10, v1, -v2
	v_fma_f32 v11, v9, v1, v8
	v_fma_f32 v3, v10, v1, v2
	v_fmac_f32_e32 v6, v0, v10
	v_fmac_f32_e32 v7, v9, v0
	v_fma_f32 v2, -v0, v10, v11
	v_fmac_f32_e32 v3, v9, v0
	v_mov_b32_e32 v0, v44
	v_mov_b32_e32 v1, v45
	ds_write_b64 v5, v[6:7] offset:9680
.LBB0_17:
	s_andn2_saveexec_b32 s0, s5
	s_cbranch_execz .LBB0_19
; %bb.18:
	v_mov_b32_e32 v8, 0
	ds_read_b64 v[0:1], v8 offset:4840
	s_waitcnt lgkmcnt(0)
	v_add_f32_e32 v6, v0, v0
	v_mul_f32_e32 v7, -2.0, v1
	v_mov_b32_e32 v0, 0
	v_mov_b32_e32 v1, 0
	ds_write_b64 v8, v[6:7] offset:4840
.LBB0_19:
	s_or_b32 exec_lo, exec_lo, s0
	v_lshlrev_b64 v[0:1], 3, v[0:1]
	v_add_co_u32 v0, s0, s1, v0
	v_add_co_ci_u32_e64 v1, s0, s4, v1, s0
	s_clause 0x1
	global_load_dwordx2 v[6:7], v[0:1], off offset:880
	global_load_dwordx2 v[8:9], v[0:1], off offset:1760
	v_add_co_u32 v10, s0, 0x800, v0
	v_add_co_ci_u32_e64 v11, s0, 0, v1, s0
	s_clause 0x1
	global_load_dwordx2 v[12:13], v[10:11], off offset:592
	global_load_dwordx2 v[10:11], v[10:11], off offset:1472
	ds_write_b64 v47, v[2:3]
	ds_read_b64 v[2:3], v47 offset:880
	ds_read_b64 v[14:15], v5 offset:8800
	v_cmp_gt_u32_e64 s0, 55, v44
	s_waitcnt lgkmcnt(0)
	v_add_f32_e32 v16, v2, v14
	v_add_f32_e32 v17, v15, v3
	v_sub_f32_e32 v18, v2, v14
	v_sub_f32_e32 v2, v3, v15
	s_waitcnt vmcnt(3)
	v_fma_f32 v19, v18, v7, v16
	v_fma_f32 v3, v17, v7, v2
	v_fma_f32 v14, -v18, v7, v16
	v_fma_f32 v15, v17, v7, -v2
	v_fma_f32 v2, -v6, v17, v19
	v_fmac_f32_e32 v3, v18, v6
	v_fmac_f32_e32 v14, v6, v17
	v_fmac_f32_e32 v15, v18, v6
	ds_write_b64 v47, v[2:3] offset:880
	ds_write_b64 v5, v[14:15] offset:8800
	ds_read_b64 v[2:3], v47 offset:1760
	ds_read_b64 v[6:7], v5 offset:7920
	s_waitcnt lgkmcnt(0)
	v_add_f32_e32 v14, v2, v6
	v_add_f32_e32 v15, v7, v3
	v_sub_f32_e32 v16, v2, v6
	v_sub_f32_e32 v2, v3, v7
	s_waitcnt vmcnt(2)
	v_fma_f32 v17, v16, v9, v14
	v_fma_f32 v3, v15, v9, v2
	v_fma_f32 v6, -v16, v9, v14
	v_fma_f32 v7, v15, v9, -v2
	v_fma_f32 v2, -v8, v15, v17
	v_fmac_f32_e32 v3, v16, v8
	v_fmac_f32_e32 v6, v8, v15
	v_fmac_f32_e32 v7, v16, v8
	ds_write_b64 v47, v[2:3] offset:1760
	ds_write_b64 v5, v[6:7] offset:7920
	ds_read_b64 v[2:3], v47 offset:2640
	ds_read_b64 v[6:7], v5 offset:7040
	;; [unrolled: 18-line block ×3, first 2 shown]
	s_waitcnt lgkmcnt(0)
	v_add_f32_e32 v8, v2, v6
	v_add_f32_e32 v9, v7, v3
	v_sub_f32_e32 v12, v2, v6
	v_sub_f32_e32 v2, v3, v7
	s_waitcnt vmcnt(0)
	v_fma_f32 v13, v12, v11, v8
	v_fma_f32 v3, v9, v11, v2
	v_fma_f32 v6, -v12, v11, v8
	v_fma_f32 v7, v9, v11, -v2
	v_fma_f32 v2, -v10, v9, v13
	v_fmac_f32_e32 v3, v12, v10
	v_fmac_f32_e32 v6, v10, v9
	;; [unrolled: 1-line block ×3, first 2 shown]
	ds_write_b64 v47, v[2:3] offset:3520
	ds_write_b64 v5, v[6:7] offset:6160
	s_and_saveexec_b32 s4, s0
	s_cbranch_execz .LBB0_21
; %bb.20:
	v_add_co_u32 v0, s1, 0x1000, v0
	v_add_co_ci_u32_e64 v1, s1, 0, v1, s1
	global_load_dwordx2 v[0:1], v[0:1], off offset:304
	ds_read_b64 v[2:3], v47 offset:4400
	ds_read_b64 v[6:7], v5 offset:5280
	s_waitcnt lgkmcnt(0)
	v_add_f32_e32 v8, v2, v6
	v_add_f32_e32 v9, v7, v3
	v_sub_f32_e32 v10, v2, v6
	v_sub_f32_e32 v3, v3, v7
	s_waitcnt vmcnt(0)
	v_fma_f32 v11, v10, v1, v8
	v_fma_f32 v2, v9, v1, v3
	v_fma_f32 v6, -v10, v1, v8
	v_fma_f32 v7, v9, v1, -v3
	v_fma_f32 v1, -v0, v9, v11
	v_fmac_f32_e32 v2, v10, v0
	v_fmac_f32_e32 v6, v0, v9
	;; [unrolled: 1-line block ×3, first 2 shown]
	ds_write_b64 v47, v[1:2] offset:4400
	ds_write_b64 v5, v[6:7] offset:5280
.LBB0_21:
	s_or_b32 exec_lo, exec_lo, s4
	v_add_nc_u32_e32 v6, 0x1000, v47
	v_add_nc_u32_e32 v5, 0x400, v47
	;; [unrolled: 1-line block ×3, first 2 shown]
	s_waitcnt lgkmcnt(0)
	s_barrier
	buffer_gl0_inv
	s_barrier
	buffer_gl0_inv
	ds_read2_b64 v[0:3], v47 offset1:110
	ds_read2_b64 v[7:10], v6 offset0:93 offset1:203
	ds_read2_b64 v[11:14], v5 offset0:92 offset1:202
	;; [unrolled: 1-line block ×3, first 2 shown]
	v_add_nc_u32_e32 v6, 0xc00, v47
	v_add_nc_u32_e32 v23, 0x2000, v47
	ds_read2_b64 v[19:22], v6 offset0:56 offset1:166
	ds_read2_b64 v[23:26], v23 offset0:21 offset1:131
	v_add_nc_u32_e32 v45, 0x6e, v44
	v_add_nc_u32_e32 v38, 0xdc, v44
	s_waitcnt lgkmcnt(0)
	s_barrier
	buffer_gl0_inv
	v_sub_f32_e32 v9, v2, v9
	v_sub_f32_e32 v10, v3, v10
	;; [unrolled: 1-line block ×6, first 2 shown]
	v_fma_f32 v29, v2, 2.0, -v9
	v_fma_f32 v30, v3, 2.0, -v10
	v_sub_f32_e32 v2, v21, v25
	v_sub_f32_e32 v3, v22, v26
	;; [unrolled: 1-line block ×3, first 2 shown]
	v_fma_f32 v31, v11, 2.0, -v15
	v_sub_f32_e32 v18, v14, v18
	v_lshl_add_u32 v11, v44, 4, 0
	v_sub_f32_e32 v23, v19, v23
	v_sub_f32_e32 v24, v20, v24
	v_fma_f32 v27, v0, 2.0, -v7
	v_fma_f32 v28, v1, 2.0, -v8
	;; [unrolled: 1-line block ×5, first 2 shown]
	v_add_nc_u32_e32 v12, v47, v4
	v_lshl_add_u32 v21, v45, 4, 0
	v_lshl_add_u32 v22, v38, 4, 0
	v_fma_f32 v13, v13, 2.0, -v17
	v_fma_f32 v14, v14, 2.0, -v18
	v_add_nc_u32_e32 v25, 0x14a0, v11
	v_fma_f32 v19, v19, 2.0, -v23
	v_fma_f32 v20, v20, 2.0, -v24
	v_add_nc_u32_e32 v11, 0x1b80, v11
	ds_write2_b64 v12, v[27:28], v[7:8] offset1:1
	ds_write2_b64 v21, v[29:30], v[9:10] offset1:1
	;; [unrolled: 1-line block ×5, first 2 shown]
	s_and_saveexec_b32 s1, s0
	s_cbranch_execz .LBB0_23
; %bb.22:
	v_lshlrev_b32_e32 v7, 4, v44
	v_add3_u32 v7, v7, 0, 0x2260
	ds_write2_b64 v7, v[0:1], v[2:3] offset1:1
.LBB0_23:
	s_or_b32 exec_lo, exec_lo, s1
	v_add_nc_u32_e32 v7, 0x1400, v47
	v_add_nc_u32_e32 v13, 0x1c00, v47
	s_waitcnt lgkmcnt(0)
	s_barrier
	buffer_gl0_inv
	ds_read2_b64 v[8:11], v47 offset1:110
	ds_read2_b64 v[32:35], v5 offset0:114 offset1:224
	ds_read2_b64 v[28:31], v6 offset0:100 offset1:210
	;; [unrolled: 1-line block ×4, first 2 shown]
	v_cmp_gt_u32_e64 s0, 22, v44
                                        ; implicit-def: $vgpr7
                                        ; implicit-def: $vgpr37
	s_and_saveexec_b32 s1, s0
	s_cbranch_execz .LBB0_25
; %bb.24:
	v_add_nc_u32_e32 v0, 0x680, v47
	v_sub_nc_u32_e32 v4, v12, v4
	v_add_nc_u32_e32 v5, 0x1d80, v47
	ds_read2_b64 v[0:3], v0 offset0:12 offset1:254
	ds_read_b64 v[36:37], v4 offset:5632
	ds_read2_b64 v[4:7], v5 offset0:2 offset1:244
.LBB0_25:
	s_or_b32 exec_lo, exec_lo, s1
	v_and_b32_e32 v39, 1, v44
	v_lshrrev_b32_e32 v46, 1, v44
	v_lshrrev_b32_e32 v45, 1, v45
	v_lshlrev_b32_e32 v12, 5, v39
	v_mul_u32_u24_e32 v46, 10, v46
	v_mul_u32_u24_e32 v45, 10, v45
	s_clause 0x1
	global_load_dwordx4 v[16:19], v12, s[12:13]
	global_load_dwordx4 v[12:15], v12, s[12:13] offset:16
	v_or_b32_e32 v46, v46, v39
	v_or_b32_e32 v45, v45, v39
	s_waitcnt vmcnt(0) lgkmcnt(0)
	s_barrier
	buffer_gl0_inv
	v_lshl_add_u32 v46, v46, 3, 0
	v_lshl_add_u32 v45, v45, 3, 0
	v_mul_f32_e32 v48, v17, v33
	v_mul_f32_e32 v50, v19, v29
	;; [unrolled: 1-line block ×16, first 2 shown]
	v_fma_f32 v32, v16, v32, -v48
	v_fma_f32 v28, v18, v28, -v50
	v_fmac_f32_e32 v51, v18, v29
	v_fma_f32 v24, v12, v24, -v52
	v_fmac_f32_e32 v53, v12, v25
	v_fmac_f32_e32 v49, v16, v33
	v_fma_f32 v33, v14, v20, -v54
	v_fmac_f32_e32 v55, v14, v21
	v_fma_f32 v20, v16, v34, -v56
	v_fma_f32 v25, v18, v30, -v58
	v_fmac_f32_e32 v59, v18, v31
	v_fma_f32 v29, v12, v26, -v60
	v_fmac_f32_e32 v61, v12, v27
	v_fmac_f32_e32 v57, v16, v35
	v_fma_f32 v34, v14, v22, -v62
	v_fmac_f32_e32 v63, v14, v23
	v_add_f32_e32 v21, v8, v32
	v_add_f32_e32 v22, v28, v24
	;; [unrolled: 1-line block ×5, first 2 shown]
	v_sub_f32_e32 v23, v32, v28
	v_sub_f32_e32 v26, v33, v24
	;; [unrolled: 1-line block ×4, first 2 shown]
	v_add_f32_e32 v64, v10, v20
	v_add_f32_e32 v65, v25, v29
	;; [unrolled: 1-line block ×6, first 2 shown]
	v_sub_f32_e32 v35, v49, v55
	v_sub_f32_e32 v54, v32, v33
	;; [unrolled: 1-line block ×7, first 2 shown]
	v_add_f32_e32 v73, v11, v57
	v_sub_f32_e32 v75, v20, v34
	v_add_f32_e32 v28, v21, v28
	v_fma_f32 v20, -0.5, v22, v8
	v_fma_f32 v21, -0.5, v52, v9
	v_sub_f32_e32 v48, v51, v53
	v_fma_f32 v8, -0.5, v27, v8
	v_fma_f32 v9, -0.5, v60, v9
	v_sub_f32_e32 v66, v57, v63
	v_add_f32_e32 v81, v23, v26
	v_add_f32_e32 v82, v30, v31
	v_add_f32_e32 v31, v64, v25
	v_fma_f32 v22, -0.5, v65, v10
	v_fma_f32 v23, -0.5, v74, v11
	v_sub_f32_e32 v67, v59, v61
	v_sub_f32_e32 v76, v25, v29
	v_add_f32_e32 v30, v50, v51
	v_fma_f32 v10, -0.5, v70, v10
	v_fmac_f32_e32 v11, -0.5, v79
	v_sub_f32_e32 v77, v57, v59
	v_sub_f32_e32 v57, v59, v57
	v_add_f32_e32 v50, v32, v58
	v_add_f32_e32 v32, v73, v59
	;; [unrolled: 1-line block ×3, first 2 shown]
	v_fmamk_f32 v24, v35, 0x3f737871, v20
	v_fmamk_f32 v25, v54, 0xbf737871, v21
	v_sub_f32_e32 v49, v51, v49
	v_sub_f32_e32 v62, v53, v55
	v_fmamk_f32 v26, v48, 0xbf737871, v8
	v_fmac_f32_e32 v8, 0x3f737871, v48
	v_fmamk_f32 v27, v56, 0x3f737871, v9
	v_fmac_f32_e32 v9, 0xbf737871, v56
	v_fmac_f32_e32 v20, 0xbf737871, v35
	v_fmac_f32_e32 v21, 0x3f737871, v54
	v_sub_f32_e32 v69, v34, v29
	v_sub_f32_e32 v72, v29, v34
	v_sub_f32_e32 v78, v63, v61
	v_add_f32_e32 v60, v31, v29
	v_fmamk_f32 v28, v66, 0x3f737871, v22
	v_fmamk_f32 v29, v75, 0xbf737871, v23
	v_sub_f32_e32 v80, v61, v63
	v_add_f32_e32 v53, v30, v53
	v_fmamk_f32 v30, v67, 0xbf737871, v10
	v_fmac_f32_e32 v10, 0x3f737871, v67
	v_fmamk_f32 v31, v76, 0x3f737871, v11
	v_fmac_f32_e32 v11, 0xbf737871, v76
	v_fmac_f32_e32 v22, 0xbf737871, v66
	;; [unrolled: 1-line block ×5, first 2 shown]
	v_add_f32_e32 v49, v49, v62
	v_fmac_f32_e32 v26, 0x3f167918, v35
	v_fmac_f32_e32 v8, 0xbf167918, v35
	;; [unrolled: 1-line block ×6, first 2 shown]
	v_add_f32_e32 v51, v68, v69
	v_add_f32_e32 v58, v77, v78
	;; [unrolled: 1-line block ×3, first 2 shown]
	v_fmac_f32_e32 v28, 0x3f167918, v67
	v_fmac_f32_e32 v29, 0xbf167918, v76
	v_add_f32_e32 v52, v71, v72
	v_add_f32_e32 v57, v57, v80
	v_fmac_f32_e32 v30, 0x3f167918, v66
	v_fmac_f32_e32 v10, 0xbf167918, v66
	;; [unrolled: 1-line block ×4, first 2 shown]
	v_add_f32_e32 v32, v59, v33
	v_add_f32_e32 v33, v53, v55
	v_fmac_f32_e32 v22, 0xbf167918, v67
	v_fmac_f32_e32 v23, 0x3f167918, v76
	;; [unrolled: 1-line block ×10, first 2 shown]
	v_add_f32_e32 v34, v60, v34
	v_add_f32_e32 v35, v61, v63
	v_fmac_f32_e32 v28, 0x3e9e377a, v51
	v_fmac_f32_e32 v29, 0x3e9e377a, v58
	;; [unrolled: 1-line block ×8, first 2 shown]
	ds_write2_b64 v46, v[32:33], v[24:25] offset1:2
	ds_write2_b64 v46, v[26:27], v[8:9] offset0:4 offset1:6
	ds_write_b64 v46, v[20:21] offset:64
	ds_write2_b64 v45, v[34:35], v[28:29] offset1:2
	ds_write2_b64 v45, v[30:31], v[10:11] offset0:4 offset1:6
	ds_write_b64 v45, v[22:23] offset:64
	s_and_saveexec_b32 s1, s0
	s_cbranch_execz .LBB0_27
; %bb.26:
	v_mul_f32_e32 v8, v2, v17
	v_mul_f32_e32 v9, v3, v17
	;; [unrolled: 1-line block ×5, first 2 shown]
	v_fmac_f32_e32 v8, v3, v16
	v_mul_f32_e32 v3, v37, v19
	v_fma_f32 v16, v2, v16, -v9
	v_fmac_f32_e32 v17, v37, v18
	v_mul_f32_e32 v13, v5, v13
	v_add_f32_e32 v2, v1, v8
	v_fmac_f32_e32 v10, v7, v14
	v_fma_f32 v18, v36, v18, -v3
	v_add_f32_e32 v3, v0, v16
	v_fmac_f32_e32 v11, v5, v12
	v_add_f32_e32 v2, v2, v17
	v_fma_f32 v12, v4, v12, -v13
	v_mul_f32_e32 v4, v7, v15
	v_add_f32_e32 v3, v3, v18
	v_add_f32_e32 v5, v8, v10
	;; [unrolled: 1-line block ×3, first 2 shown]
	v_sub_f32_e32 v15, v11, v10
	v_fma_f32 v13, v6, v14, -v4
	v_add_f32_e32 v4, v3, v12
	v_fma_f32 v3, -0.5, v5, v1
	v_add_f32_e32 v5, v2, v10
	v_add_f32_e32 v2, v17, v11
	v_sub_f32_e32 v6, v18, v12
	v_sub_f32_e32 v19, v16, v13
	;; [unrolled: 1-line block ×4, first 2 shown]
	v_fmac_f32_e32 v1, -0.5, v2
	v_fmamk_f32 v7, v6, 0xbf737871, v3
	v_fmac_f32_e32 v3, 0x3f737871, v6
	v_sub_f32_e32 v2, v8, v17
	v_add_f32_e32 v14, v14, v15
	v_fmamk_f32 v9, v19, 0x3f737871, v1
	v_fmac_f32_e32 v1, 0xbf737871, v19
	v_fmac_f32_e32 v7, 0x3f167918, v19
	;; [unrolled: 1-line block ×3, first 2 shown]
	v_add_f32_e32 v15, v2, v20
	v_fmac_f32_e32 v9, 0x3f167918, v6
	v_add_f32_e32 v2, v16, v13
	v_fmac_f32_e32 v1, 0xbf167918, v6
	v_add_f32_e32 v19, v18, v12
	v_sub_f32_e32 v10, v8, v10
	v_fmac_f32_e32 v9, 0x3e9e377a, v15
	v_fma_f32 v2, -0.5, v2, v0
	v_fmac_f32_e32 v1, 0x3e9e377a, v15
	v_fmac_f32_e32 v0, -0.5, v19
	v_lshrrev_b32_e32 v15, 1, v38
	v_fmac_f32_e32 v7, 0x3e9e377a, v14
	v_fmac_f32_e32 v3, 0x3e9e377a, v14
	v_sub_f32_e32 v6, v18, v16
	v_sub_f32_e32 v14, v12, v13
	;; [unrolled: 1-line block ×3, first 2 shown]
	v_add_f32_e32 v4, v4, v13
	v_sub_f32_e32 v16, v16, v18
	v_sub_f32_e32 v12, v13, v12
	v_fmamk_f32 v8, v10, 0xbf737871, v0
	v_fmac_f32_e32 v0, 0x3f737871, v10
	v_mul_u32_u24_e32 v13, 10, v15
	v_add_f32_e32 v14, v6, v14
	v_fmamk_f32 v6, v11, 0x3f737871, v2
	v_fmac_f32_e32 v2, 0xbf737871, v11
	v_add_f32_e32 v12, v16, v12
	v_fmac_f32_e32 v0, 0x3f167918, v11
	v_or_b32_e32 v13, v13, v39
	v_fmac_f32_e32 v6, 0xbf167918, v10
	v_fmac_f32_e32 v2, 0x3f167918, v10
	;; [unrolled: 1-line block ×4, first 2 shown]
	v_lshl_add_u32 v10, v13, 3, 0
	v_fmac_f32_e32 v6, 0x3e9e377a, v14
	v_fmac_f32_e32 v2, 0x3e9e377a, v14
	;; [unrolled: 1-line block ×3, first 2 shown]
	ds_write2_b64 v10, v[4:5], v[0:1] offset1:2
	ds_write2_b64 v10, v[2:3], v[6:7] offset0:4 offset1:6
	ds_write_b64 v10, v[8:9] offset:64
.LBB0_27:
	s_or_b32 exec_lo, exec_lo, s1
	v_and_b32_e32 v0, 0xff, v44
	v_mov_b32_e32 v1, 10
	s_waitcnt lgkmcnt(0)
	s_barrier
	buffer_gl0_inv
	v_mul_lo_u16 v0, 0xcd, v0
	v_add_nc_u32_e32 v50, 0x400, v47
	v_add_nc_u32_e32 v49, 0xc00, v47
	v_add_nc_u32_e32 v48, 0x1400, v47
	v_mov_b32_e32 v38, 0x370
	v_lshrrev_b16 v32, 11, v0
	v_mov_b32_e32 v39, 3
	v_add_nc_u32_e32 v51, 0x1800, v47
	v_mul_u32_u24_e32 v45, 10, v44
	v_mul_lo_u16 v0, v32, 10
	v_mul_u32_u24_sdwa v38, v32, v38 dst_sel:DWORD dst_unused:UNUSED_PAD src0_sel:WORD_0 src1_sel:DWORD
	v_lshlrev_b32_e32 v45, 3, v45
	v_sub_nc_u16 v33, v44, v0
	v_mul_u32_u24_sdwa v0, v33, v1 dst_sel:DWORD dst_unused:UNUSED_PAD src0_sel:BYTE_0 src1_sel:DWORD
	v_lshlrev_b32_sdwa v39, v39, v33 dst_sel:DWORD dst_unused:UNUSED_PAD src0_sel:DWORD src1_sel:BYTE_0
	v_lshlrev_b32_e32 v0, 3, v0
	v_add3_u32 v38, 0, v38, v39
	s_clause 0x4
	global_load_dwordx4 v[16:19], v0, s[12:13] offset:64
	global_load_dwordx4 v[12:15], v0, s[12:13] offset:80
	;; [unrolled: 1-line block ×5, first 2 shown]
	ds_read2_b64 v[0:3], v47 offset1:110
	ds_read2_b64 v[24:27], v50 offset0:92 offset1:202
	ds_read2_b64 v[28:31], v49 offset0:56 offset1:166
	;; [unrolled: 1-line block ×3, first 2 shown]
	ds_read_b64 v[32:33], v47 offset:8800
	ds_read2_b64 v[52:55], v51 offset0:112 offset1:222
	s_waitcnt vmcnt(0) lgkmcnt(0)
	s_barrier
	buffer_gl0_inv
	v_mul_f32_e32 v39, v17, v3
	v_mul_f32_e32 v17, v17, v2
	;; [unrolled: 1-line block ×20, first 2 shown]
	v_fma_f32 v2, v16, v2, -v39
	v_fmac_f32_e32 v17, v16, v3
	v_fma_f32 v3, v18, v24, -v46
	v_fmac_f32_e32 v19, v18, v25
	;; [unrolled: 2-line block ×8, first 2 shown]
	v_fma_f32 v18, v54, v20, -v62
	v_fma_f32 v24, v32, v22, -v63
	v_fmac_f32_e32 v23, v33, v22
	v_fmac_f32_e32 v21, v55, v20
	v_add_f32_e32 v6, v2, v0
	v_add_f32_e32 v20, v17, v1
	;; [unrolled: 1-line block ×4, first 2 shown]
	v_sub_f32_e32 v2, v2, v24
	v_sub_f32_e32 v17, v17, v23
	v_add_f32_e32 v26, v3, v18
	v_sub_f32_e32 v28, v3, v18
	v_add_f32_e32 v3, v6, v3
	v_add_f32_e32 v6, v20, v19
	;; [unrolled: 1-line block ×3, first 2 shown]
	v_sub_f32_e32 v29, v19, v21
	v_mul_f32_e32 v19, 0xbf0a6770, v17
	v_mul_f32_e32 v20, 0xbf0a6770, v2
	;; [unrolled: 1-line block ×8, first 2 shown]
	v_add_f32_e32 v3, v3, v16
	v_add_f32_e32 v6, v6, v13
	v_mul_f32_e32 v59, 0xbf4178ce, v2
	v_mul_f32_e32 v2, 0xbe903f40, v2
	v_sub_f32_e32 v31, v13, v7
	v_sub_f32_e32 v32, v16, v4
	;; [unrolled: 1-line block ×6, first 2 shown]
	v_mul_f32_e32 v60, 0xbf68dda4, v29
	v_mul_f32_e32 v61, 0xbf68dda4, v28
	;; [unrolled: 1-line block ×8, first 2 shown]
	v_fma_f32 v92, 0x3f575c64, v22, -v19
	v_fmamk_f32 v93, v25, 0x3f575c64, v20
	v_fmac_f32_e32 v19, 0x3f575c64, v22
	v_fma_f32 v20, 0x3f575c64, v25, -v20
	v_fma_f32 v94, 0x3ed4b147, v22, -v54
	v_fmamk_f32 v95, v25, 0x3ed4b147, v55
	v_fmac_f32_e32 v54, 0x3ed4b147, v22
	v_fma_f32 v55, 0x3ed4b147, v25, -v55
	v_fma_f32 v96, 0xbe11bafb, v22, -v56
	v_fmamk_f32 v97, v25, 0xbe11bafb, v57
	v_fmac_f32_e32 v56, 0xbe11bafb, v22
	v_fma_f32 v98, 0xbf27a4f4, v22, -v58
	v_fmac_f32_e32 v58, 0xbf27a4f4, v22
	v_fma_f32 v100, 0xbf75a155, v22, -v17
	v_fmac_f32_e32 v17, 0xbf75a155, v22
	v_add_f32_e32 v3, v3, v12
	v_add_f32_e32 v6, v6, v15
	v_mul_f32_e32 v67, 0x3f7d64f0, v28
	v_mul_f32_e32 v28, 0x3f0a6770, v28
	v_fma_f32 v57, 0xbe11bafb, v25, -v57
	v_fmamk_f32 v99, v25, 0xbf27a4f4, v59
	v_fmamk_f32 v101, v25, 0xbf75a155, v2
	v_fma_f32 v59, 0xbf27a4f4, v25, -v59
	v_fma_f32 v2, 0xbf75a155, v25, -v2
	v_add_f32_e32 v30, v16, v4
	v_add_f32_e32 v33, v13, v7
	;; [unrolled: 1-line block ×6, first 2 shown]
	v_mul_f32_e32 v68, 0xbf7d64f0, v31
	v_mul_f32_e32 v69, 0x3e903f40, v31
	;; [unrolled: 1-line block ×30, first 2 shown]
	v_fma_f32 v22, 0x3ed4b147, v26, -v60
	v_fmamk_f32 v25, v27, 0x3ed4b147, v61
	v_fmac_f32_e32 v60, 0x3ed4b147, v26
	v_fma_f32 v61, 0x3ed4b147, v27, -v61
	v_fma_f32 v102, 0xbf27a4f4, v26, -v62
	v_fmamk_f32 v103, v27, 0xbf27a4f4, v63
	v_fmac_f32_e32 v62, 0xbf27a4f4, v26
	v_fma_f32 v63, 0xbf27a4f4, v27, -v63
	v_fma_f32 v104, 0xbf75a155, v26, -v64
	v_fmamk_f32 v105, v27, 0xbf75a155, v65
	v_fmac_f32_e32 v64, 0xbf75a155, v26
	v_fma_f32 v108, 0x3f575c64, v26, -v29
	v_fmac_f32_e32 v29, 0x3f575c64, v26
	v_add_f32_e32 v92, v92, v0
	v_add_f32_e32 v93, v93, v1
	;; [unrolled: 1-line block ×17, first 2 shown]
	v_fma_f32 v65, 0xbf75a155, v27, -v65
	v_fma_f32 v106, 0xbe11bafb, v26, -v66
	v_fmamk_f32 v107, v27, 0xbe11bafb, v67
	v_fmac_f32_e32 v66, 0xbe11bafb, v26
	v_fmamk_f32 v26, v27, 0x3f575c64, v28
	v_add_f32_e32 v57, v57, v1
	v_add_f32_e32 v99, v99, v1
	;; [unrolled: 1-line block ×3, first 2 shown]
	v_fma_f32 v67, 0xbe11bafb, v27, -v67
	v_fma_f32 v27, 0x3f575c64, v27, -v28
	v_add_f32_e32 v59, v59, v1
	v_add_f32_e32 v1, v2, v1
	v_fma_f32 v28, 0xbe11bafb, v30, -v68
	v_fmac_f32_e32 v68, 0xbe11bafb, v30
	v_fma_f32 v109, 0xbf75a155, v30, -v69
	v_fmac_f32_e32 v69, 0xbf75a155, v30
	v_fma_f32 v110, 0x3ed4b147, v30, -v70
	v_fmac_f32_e32 v70, 0x3ed4b147, v30
	v_fma_f32 v111, 0x3f575c64, v30, -v71
	v_fmac_f32_e32 v71, 0x3f575c64, v30
	v_fma_f32 v112, 0xbf27a4f4, v30, -v31
	v_fmac_f32_e32 v31, 0xbf27a4f4, v30
	v_fmamk_f32 v13, v33, 0xbe11bafb, v72
	v_fma_f32 v16, 0xbe11bafb, v33, -v72
	v_fmamk_f32 v30, v33, 0xbf75a155, v73
	v_fma_f32 v72, 0xbf75a155, v33, -v73
	v_fmamk_f32 v73, v33, 0x3ed4b147, v74
	v_fma_f32 v74, 0x3ed4b147, v33, -v74
	v_fmamk_f32 v113, v33, 0x3f575c64, v75
	v_fma_f32 v75, 0x3f575c64, v33, -v75
	v_fmamk_f32 v114, v33, 0xbf27a4f4, v32
	v_fma_f32 v32, 0xbf27a4f4, v33, -v32
	v_fma_f32 v33, 0xbf27a4f4, v35, -v76
	v_fmac_f32_e32 v76, 0xbf27a4f4, v35
	v_fma_f32 v115, 0xbe11bafb, v35, -v77
	v_fmac_f32_e32 v77, 0xbe11bafb, v35
	v_fma_f32 v116, 0x3f575c64, v35, -v78
	v_fmac_f32_e32 v78, 0x3f575c64, v35
	v_fma_f32 v117, 0xbf75a155, v35, -v79
	v_fmac_f32_e32 v79, 0xbf75a155, v35
	v_fma_f32 v118, 0x3ed4b147, v35, -v34
	v_fmac_f32_e32 v34, 0x3ed4b147, v35
	v_fmamk_f32 v35, v37, 0xbf27a4f4, v80
	v_fma_f32 v80, 0xbf27a4f4, v37, -v80
	v_fmamk_f32 v119, v37, 0xbe11bafb, v81
	v_fma_f32 v81, 0xbe11bafb, v37, -v81
	v_fmamk_f32 v120, v37, 0x3f575c64, v82
	v_fma_f32 v82, 0x3f575c64, v37, -v82
	v_fmamk_f32 v121, v37, 0xbf75a155, v83
	v_fma_f32 v83, 0xbf75a155, v37, -v83
	v_fmamk_f32 v122, v37, 0x3ed4b147, v36
	v_fma_f32 v36, 0x3ed4b147, v37, -v36
	;; [unrolled: 20-line block ×3, first 2 shown]
	v_add_f32_e32 v9, v22, v92
	v_add_f32_e32 v12, v25, v93
	;; [unrolled: 1-line block ×88, first 2 shown]
	ds_write2_b64 v38, v[4:5], v[8:9] offset0:20 offset1:30
	v_add_f32_e32 v4, v20, v24
	v_add_f32_e32 v5, v21, v23
	ds_write2_b64 v38, v[12:13], v[16:17] offset0:40 offset1:50
	ds_write2_b64 v38, v[18:19], v[14:15] offset0:60 offset1:70
	ds_write2_b64 v38, v[10:11], v[6:7] offset0:80 offset1:90
	ds_write_b64 v38, v[2:3] offset:800
	ds_write2_b64 v38, v[4:5], v[0:1] offset1:10
	s_waitcnt lgkmcnt(0)
	s_barrier
	buffer_gl0_inv
	s_clause 0x4
	global_load_dwordx4 v[16:19], v45, s[12:13] offset:864
	global_load_dwordx4 v[12:15], v45, s[12:13] offset:880
	global_load_dwordx4 v[8:11], v45, s[12:13] offset:896
	global_load_dwordx4 v[4:7], v45, s[12:13] offset:912
	global_load_dwordx4 v[20:23], v45, s[12:13] offset:928
	ds_read2_b64 v[0:3], v47 offset1:110
	ds_read2_b64 v[36:39], v50 offset0:92 offset1:202
	ds_read2_b64 v[32:35], v49 offset0:56 offset1:166
	ds_read2_b64 v[28:31], v48 offset0:20 offset1:130
	ds_read2_b64 v[24:27], v51 offset0:112 offset1:222
	ds_read_b64 v[45:46], v47 offset:8800
	s_waitcnt vmcnt(0) lgkmcnt(0)
	s_barrier
	buffer_gl0_inv
	v_mul_f32_e32 v52, v17, v3
	v_mul_f32_e32 v17, v17, v2
	;; [unrolled: 1-line block ×20, first 2 shown]
	v_fma_f32 v2, v16, v2, -v52
	v_fmac_f32_e32 v17, v16, v3
	v_fma_f32 v16, v12, v38, -v54
	v_fmac_f32_e32 v13, v12, v39
	;; [unrolled: 2-line block ×6, first 2 shown]
	v_fma_f32 v4, v24, v6, -v59
	v_fma_f32 v24, v45, v22, -v61
	v_fma_f32 v3, v18, v36, -v53
	v_fmac_f32_e32 v19, v18, v37
	v_fmac_f32_e32 v7, v25, v6
	v_fma_f32 v18, v26, v20, -v60
	v_fmac_f32_e32 v23, v46, v22
	v_fmac_f32_e32 v21, v27, v20
	v_add_f32_e32 v6, v2, v0
	v_add_f32_e32 v20, v17, v1
	;; [unrolled: 1-line block ×3, first 2 shown]
	v_sub_f32_e32 v2, v2, v24
	v_add_f32_e32 v25, v17, v23
	v_sub_f32_e32 v17, v17, v23
	v_add_f32_e32 v26, v3, v18
	;; [unrolled: 2-line block ×3, first 2 shown]
	v_add_f32_e32 v6, v20, v19
	v_mul_f32_e32 v20, 0xbf0a6770, v2
	v_mul_f32_e32 v53, 0xbf68dda4, v2
	;; [unrolled: 1-line block ×5, first 2 shown]
	v_add_f32_e32 v27, v19, v21
	v_sub_f32_e32 v29, v19, v21
	v_add_f32_e32 v30, v16, v4
	v_sub_f32_e32 v32, v16, v4
	v_mul_f32_e32 v19, 0xbf0a6770, v17
	v_mul_f32_e32 v52, 0xbf68dda4, v17
	;; [unrolled: 1-line block ×3, first 2 shown]
	v_add_f32_e32 v3, v3, v16
	v_add_f32_e32 v6, v6, v13
	v_fmamk_f32 v16, v25, 0x3f575c64, v20
	v_fma_f32 v20, 0x3f575c64, v25, -v20
	v_fmamk_f32 v91, v25, 0x3ed4b147, v53
	v_fma_f32 v53, 0x3ed4b147, v25, -v53
	v_fmamk_f32 v93, v25, 0xbe11bafb, v55
	v_fma_f32 v55, 0xbe11bafb, v25, -v55
	v_fmamk_f32 v95, v25, 0xbf27a4f4, v57
	v_fma_f32 v57, 0xbf27a4f4, v25, -v57
	v_fmamk_f32 v97, v25, 0xbf75a155, v2
	v_fma_f32 v2, 0xbf75a155, v25, -v2
	v_mul_f32_e32 v56, 0xbf4178ce, v17
	v_mul_f32_e32 v17, 0xbe903f40, v17
	v_add_f32_e32 v31, v13, v7
	v_sub_f32_e32 v33, v13, v7
	v_mul_f32_e32 v58, 0xbf68dda4, v29
	v_mul_f32_e32 v59, 0xbf68dda4, v28
	;; [unrolled: 1-line block ×6, first 2 shown]
	v_fma_f32 v13, 0x3f575c64, v22, -v19
	v_fmac_f32_e32 v19, 0x3f575c64, v22
	v_fma_f32 v90, 0x3ed4b147, v22, -v52
	v_fmac_f32_e32 v52, 0x3ed4b147, v22
	v_fma_f32 v92, 0xbe11bafb, v22, -v54
	v_add_f32_e32 v16, v16, v1
	v_add_f32_e32 v20, v20, v1
	;; [unrolled: 1-line block ×12, first 2 shown]
	v_sub_f32_e32 v34, v15, v5
	v_sub_f32_e32 v36, v12, v10
	;; [unrolled: 1-line block ×4, first 2 shown]
	v_mul_f32_e32 v64, 0x3f7d64f0, v29
	v_mul_f32_e32 v65, 0x3f7d64f0, v28
	;; [unrolled: 1-line block ×4, first 2 shown]
	v_fmac_f32_e32 v54, 0xbe11bafb, v22
	v_fma_f32 v94, 0xbf27a4f4, v22, -v56
	v_fmac_f32_e32 v56, 0xbf27a4f4, v22
	v_fma_f32 v96, 0xbf75a155, v22, -v17
	v_fmac_f32_e32 v17, 0xbf75a155, v22
	v_mul_f32_e32 v66, 0xbf7d64f0, v33
	v_mul_f32_e32 v67, 0x3e903f40, v33
	v_mul_f32_e32 v68, 0x3f68dda4, v33
	v_mul_f32_e32 v69, 0xbf0a6770, v33
	v_mul_f32_e32 v33, 0xbf4178ce, v33
	v_mul_f32_e32 v70, 0xbf7d64f0, v32
	v_mul_f32_e32 v71, 0x3e903f40, v32
	v_mul_f32_e32 v72, 0x3f68dda4, v32
	v_fma_f32 v22, 0x3ed4b147, v26, -v58
	v_fmamk_f32 v25, v27, 0x3ed4b147, v59
	v_fmac_f32_e32 v58, 0x3ed4b147, v26
	v_fma_f32 v59, 0x3ed4b147, v27, -v59
	v_fma_f32 v98, 0xbf27a4f4, v26, -v60
	v_fmamk_f32 v99, v27, 0xbf27a4f4, v61
	v_fmac_f32_e32 v60, 0xbf27a4f4, v26
	v_fma_f32 v61, 0xbf27a4f4, v27, -v61
	v_fma_f32 v100, 0xbf75a155, v26, -v62
	v_fmamk_f32 v101, v27, 0xbf75a155, v63
	v_fma_f32 v63, 0xbf75a155, v27, -v63
	v_add_f32_e32 v13, v13, v0
	v_add_f32_e32 v19, v19, v0
	;; [unrolled: 1-line block ×11, first 2 shown]
	v_mul_f32_e32 v73, 0xbf0a6770, v32
	v_mul_f32_e32 v32, 0xbf4178ce, v32
	;; [unrolled: 1-line block ×22, first 2 shown]
	v_fmac_f32_e32 v62, 0xbf75a155, v26
	v_fma_f32 v102, 0xbe11bafb, v26, -v64
	v_fmamk_f32 v103, v27, 0xbe11bafb, v65
	v_fmac_f32_e32 v64, 0xbe11bafb, v26
	v_fma_f32 v65, 0xbe11bafb, v27, -v65
	v_fma_f32 v104, 0x3f575c64, v26, -v29
	v_fmac_f32_e32 v29, 0x3f575c64, v26
	v_fmamk_f32 v26, v27, 0x3f575c64, v28
	v_add_f32_e32 v54, v54, v0
	v_add_f32_e32 v94, v94, v0
	;; [unrolled: 1-line block ×4, first 2 shown]
	v_fma_f32 v27, 0x3f575c64, v27, -v28
	v_add_f32_e32 v0, v17, v0
	v_fma_f32 v28, 0xbe11bafb, v30, -v66
	v_fmac_f32_e32 v66, 0xbe11bafb, v30
	v_fma_f32 v105, 0xbf75a155, v30, -v67
	v_fmac_f32_e32 v67, 0xbf75a155, v30
	;; [unrolled: 2-line block ×5, first 2 shown]
	v_fmamk_f32 v30, v31, 0xbe11bafb, v70
	v_fma_f32 v70, 0xbe11bafb, v31, -v70
	v_fmamk_f32 v109, v31, 0xbf75a155, v71
	v_fma_f32 v71, 0xbf75a155, v31, -v71
	;; [unrolled: 2-line block ×3, first 2 shown]
	v_add_f32_e32 v6, v22, v13
	v_add_f32_e32 v9, v25, v16
	;; [unrolled: 1-line block ×13, first 2 shown]
	v_fmamk_f32 v111, v31, 0x3f575c64, v73
	v_fma_f32 v73, 0x3f575c64, v31, -v73
	v_fmamk_f32 v112, v31, 0xbf27a4f4, v32
	v_fma_f32 v31, 0xbf27a4f4, v31, -v32
	v_fma_f32 v32, 0xbf27a4f4, v35, -v74
	v_fmac_f32_e32 v74, 0xbf27a4f4, v35
	v_fma_f32 v113, 0xbe11bafb, v35, -v75
	v_fmac_f32_e32 v75, 0xbe11bafb, v35
	;; [unrolled: 2-line block ×5, first 2 shown]
	v_fmamk_f32 v35, v37, 0xbf27a4f4, v78
	v_fma_f32 v78, 0xbf27a4f4, v37, -v78
	v_fmamk_f32 v117, v37, 0xbe11bafb, v79
	v_fma_f32 v79, 0xbe11bafb, v37, -v79
	;; [unrolled: 2-line block ×5, first 2 shown]
	v_fma_f32 v37, 0xbf75a155, v39, -v82
	v_fmac_f32_e32 v82, 0xbf75a155, v39
	v_fma_f32 v121, 0x3f575c64, v39, -v83
	v_fmac_f32_e32 v83, 0x3f575c64, v39
	v_fma_f32 v122, 0xbf27a4f4, v39, -v84
	v_fmac_f32_e32 v84, 0xbf27a4f4, v39
	v_fma_f32 v123, 0x3ed4b147, v39, -v85
	v_fmac_f32_e32 v85, 0x3ed4b147, v39
	v_fma_f32 v124, 0xbe11bafb, v39, -v38
	v_fmac_f32_e32 v38, 0xbe11bafb, v39
	v_fmamk_f32 v39, v46, 0xbf75a155, v86
	v_fma_f32 v86, 0xbf75a155, v46, -v86
	v_fmamk_f32 v17, v46, 0x3f575c64, v87
	v_fma_f32 v87, 0x3f575c64, v46, -v87
	;; [unrolled: 2-line block ×5, first 2 shown]
	v_add_f32_e32 v46, v62, v54
	v_add_f32_e32 v53, v102, v94
	;; [unrolled: 1-line block ×75, first 2 shown]
	ds_write2_b64 v50, v[4:5], v[8:9] offset0:92 offset1:202
	v_add_f32_e32 v4, v20, v24
	v_add_f32_e32 v5, v21, v23
	ds_write2_b64 v49, v[12:13], v[16:17] offset0:56 offset1:166
	ds_write2_b64 v48, v[18:19], v[14:15] offset0:20 offset1:130
	;; [unrolled: 1-line block ×3, first 2 shown]
	ds_write_b64 v47, v[2:3] offset:8800
	ds_write2_b64 v47, v[4:5], v[0:1] offset1:110
	s_waitcnt lgkmcnt(0)
	s_barrier
	buffer_gl0_inv
	s_and_saveexec_b32 s0, vcc_lo
	s_cbranch_execz .LBB0_29
; %bb.28:
	v_mul_lo_u32 v2, s3, v42
	v_mul_lo_u32 v3, s2, v43
	v_mad_u64_u32 v[0:1], null, s2, v42, 0
	v_lshl_add_u32 v16, v44, 3, 0
	v_mov_b32_e32 v45, 0
	v_lshlrev_b64 v[4:5], 3, v[40:41]
	v_add_nc_u32_e32 v8, 0x6e, v44
	v_add_nc_u32_e32 v10, 0xdc, v44
	;; [unrolled: 1-line block ×3, first 2 shown]
	v_add3_u32 v1, v1, v3, v2
	v_lshlrev_b64 v[12:13], 3, v[44:45]
	v_mov_b32_e32 v9, v45
	v_mov_b32_e32 v11, v45
	;; [unrolled: 1-line block ×3, first 2 shown]
	v_lshlrev_b64 v[6:7], 3, v[0:1]
	ds_read2_b64 v[0:3], v16 offset1:110
	v_lshlrev_b64 v[8:9], 3, v[8:9]
	v_lshlrev_b64 v[10:11], 3, v[10:11]
	v_add_co_u32 v6, vcc_lo, s10, v6
	v_add_co_ci_u32_e32 v7, vcc_lo, s11, v7, vcc_lo
	v_add_co_u32 v20, vcc_lo, v6, v4
	v_add_co_ci_u32_e32 v21, vcc_lo, v7, v5, vcc_lo
	ds_read2_b64 v[4:7], v14 offset0:92 offset1:202
	v_add_co_u32 v12, vcc_lo, v20, v12
	v_add_co_ci_u32_e32 v13, vcc_lo, v21, v13, vcc_lo
	v_add_nc_u32_e32 v14, 0xc00, v16
	s_waitcnt lgkmcnt(1)
	global_store_dwordx2 v[12:13], v[0:1], off
	v_add_co_u32 v0, vcc_lo, v20, v8
	v_add_co_ci_u32_e32 v1, vcc_lo, v21, v9, vcc_lo
	v_add_co_u32 v8, vcc_lo, v20, v10
	v_add_co_ci_u32_e32 v9, vcc_lo, v21, v11, vcc_lo
	v_add_nc_u32_e32 v10, 0x14a, v44
	v_mov_b32_e32 v11, v45
	global_store_dwordx2 v[0:1], v[2:3], off
	s_waitcnt lgkmcnt(0)
	global_store_dwordx2 v[8:9], v[4:5], off
	v_add_nc_u32_e32 v12, 0x1b8, v44
	v_mov_b32_e32 v13, v45
	ds_read2_b64 v[0:3], v14 offset0:56 offset1:166
	v_lshlrev_b64 v[4:5], 3, v[10:11]
	v_add_nc_u32_e32 v10, 0x226, v44
	v_add_nc_u32_e32 v14, 0x1400, v16
	v_lshlrev_b64 v[8:9], 3, v[12:13]
	v_add_nc_u32_e32 v12, 0x294, v44
	v_add_co_u32 v4, vcc_lo, v20, v4
	v_lshlrev_b64 v[10:11], 3, v[10:11]
	v_add_co_ci_u32_e32 v5, vcc_lo, v21, v5, vcc_lo
	v_add_co_u32 v8, vcc_lo, v20, v8
	v_add_co_ci_u32_e32 v9, vcc_lo, v21, v9, vcc_lo
	v_add_co_u32 v10, vcc_lo, v20, v10
	v_add_co_ci_u32_e32 v11, vcc_lo, v21, v11, vcc_lo
	global_store_dwordx2 v[4:5], v[6:7], off
	s_waitcnt lgkmcnt(0)
	global_store_dwordx2 v[8:9], v[0:1], off
	global_store_dwordx2 v[10:11], v[2:3], off
	v_lshlrev_b64 v[4:5], 3, v[12:13]
	ds_read2_b64 v[0:3], v14 offset0:20 offset1:130
	v_add_nc_u32_e32 v6, 0x302, v44
	v_mov_b32_e32 v7, v45
	v_add_nc_u32_e32 v14, 0x1800, v16
	v_add_nc_u32_e32 v8, 0x370, v44
	v_mov_b32_e32 v9, v45
	v_add_co_u32 v10, vcc_lo, v20, v4
	v_add_co_ci_u32_e32 v11, vcc_lo, v21, v5, vcc_lo
	v_lshlrev_b64 v[12:13], 3, v[6:7]
	ds_read2_b64 v[4:7], v14 offset0:112 offset1:222
	v_add_nc_u32_e32 v14, 0x3de, v44
	ds_read_b64 v[16:17], v16 offset:8800
	v_lshlrev_b64 v[8:9], 3, v[8:9]
	v_add_nc_u32_e32 v44, 0x44c, v44
	v_add_co_u32 v12, vcc_lo, v20, v12
	v_lshlrev_b64 v[14:15], 3, v[14:15]
	v_add_co_ci_u32_e32 v13, vcc_lo, v21, v13, vcc_lo
	v_add_co_u32 v8, vcc_lo, v20, v8
	v_lshlrev_b64 v[18:19], 3, v[44:45]
	v_add_co_ci_u32_e32 v9, vcc_lo, v21, v9, vcc_lo
	v_add_co_u32 v14, vcc_lo, v20, v14
	v_add_co_ci_u32_e32 v15, vcc_lo, v21, v15, vcc_lo
	v_add_co_u32 v18, vcc_lo, v20, v18
	v_add_co_ci_u32_e32 v19, vcc_lo, v21, v19, vcc_lo
	s_waitcnt lgkmcnt(2)
	global_store_dwordx2 v[10:11], v[0:1], off
	global_store_dwordx2 v[12:13], v[2:3], off
	s_waitcnt lgkmcnt(1)
	global_store_dwordx2 v[8:9], v[4:5], off
	global_store_dwordx2 v[14:15], v[6:7], off
	s_waitcnt lgkmcnt(0)
	global_store_dwordx2 v[18:19], v[16:17], off
.LBB0_29:
	s_endpgm
	.section	.rodata,"a",@progbits
	.p2align	6, 0x0
	.amdhsa_kernel fft_rtc_fwd_len1210_factors_2_5_11_11_wgs_110_tpt_110_halfLds_sp_op_CI_CI_unitstride_sbrr_C2R_dirReg
		.amdhsa_group_segment_fixed_size 0
		.amdhsa_private_segment_fixed_size 0
		.amdhsa_kernarg_size 104
		.amdhsa_user_sgpr_count 6
		.amdhsa_user_sgpr_private_segment_buffer 1
		.amdhsa_user_sgpr_dispatch_ptr 0
		.amdhsa_user_sgpr_queue_ptr 0
		.amdhsa_user_sgpr_kernarg_segment_ptr 1
		.amdhsa_user_sgpr_dispatch_id 0
		.amdhsa_user_sgpr_flat_scratch_init 0
		.amdhsa_user_sgpr_private_segment_size 0
		.amdhsa_wavefront_size32 1
		.amdhsa_uses_dynamic_stack 0
		.amdhsa_system_sgpr_private_segment_wavefront_offset 0
		.amdhsa_system_sgpr_workgroup_id_x 1
		.amdhsa_system_sgpr_workgroup_id_y 0
		.amdhsa_system_sgpr_workgroup_id_z 0
		.amdhsa_system_sgpr_workgroup_info 0
		.amdhsa_system_vgpr_workitem_id 0
		.amdhsa_next_free_vgpr 128
		.amdhsa_next_free_sgpr 27
		.amdhsa_reserve_vcc 1
		.amdhsa_reserve_flat_scratch 0
		.amdhsa_float_round_mode_32 0
		.amdhsa_float_round_mode_16_64 0
		.amdhsa_float_denorm_mode_32 3
		.amdhsa_float_denorm_mode_16_64 3
		.amdhsa_dx10_clamp 1
		.amdhsa_ieee_mode 1
		.amdhsa_fp16_overflow 0
		.amdhsa_workgroup_processor_mode 1
		.amdhsa_memory_ordered 1
		.amdhsa_forward_progress 0
		.amdhsa_shared_vgpr_count 0
		.amdhsa_exception_fp_ieee_invalid_op 0
		.amdhsa_exception_fp_denorm_src 0
		.amdhsa_exception_fp_ieee_div_zero 0
		.amdhsa_exception_fp_ieee_overflow 0
		.amdhsa_exception_fp_ieee_underflow 0
		.amdhsa_exception_fp_ieee_inexact 0
		.amdhsa_exception_int_div_zero 0
	.end_amdhsa_kernel
	.text
.Lfunc_end0:
	.size	fft_rtc_fwd_len1210_factors_2_5_11_11_wgs_110_tpt_110_halfLds_sp_op_CI_CI_unitstride_sbrr_C2R_dirReg, .Lfunc_end0-fft_rtc_fwd_len1210_factors_2_5_11_11_wgs_110_tpt_110_halfLds_sp_op_CI_CI_unitstride_sbrr_C2R_dirReg
                                        ; -- End function
	.section	.AMDGPU.csdata,"",@progbits
; Kernel info:
; codeLenInByte = 10052
; NumSgprs: 29
; NumVgprs: 128
; ScratchSize: 0
; MemoryBound: 0
; FloatMode: 240
; IeeeMode: 1
; LDSByteSize: 0 bytes/workgroup (compile time only)
; SGPRBlocks: 3
; VGPRBlocks: 15
; NumSGPRsForWavesPerEU: 29
; NumVGPRsForWavesPerEU: 128
; Occupancy: 8
; WaveLimiterHint : 1
; COMPUTE_PGM_RSRC2:SCRATCH_EN: 0
; COMPUTE_PGM_RSRC2:USER_SGPR: 6
; COMPUTE_PGM_RSRC2:TRAP_HANDLER: 0
; COMPUTE_PGM_RSRC2:TGID_X_EN: 1
; COMPUTE_PGM_RSRC2:TGID_Y_EN: 0
; COMPUTE_PGM_RSRC2:TGID_Z_EN: 0
; COMPUTE_PGM_RSRC2:TIDIG_COMP_CNT: 0
	.text
	.p2alignl 6, 3214868480
	.fill 48, 4, 3214868480
	.type	__hip_cuid_2955c7c7639d9191,@object ; @__hip_cuid_2955c7c7639d9191
	.section	.bss,"aw",@nobits
	.globl	__hip_cuid_2955c7c7639d9191
__hip_cuid_2955c7c7639d9191:
	.byte	0                               ; 0x0
	.size	__hip_cuid_2955c7c7639d9191, 1

	.ident	"AMD clang version 19.0.0git (https://github.com/RadeonOpenCompute/llvm-project roc-6.4.0 25133 c7fe45cf4b819c5991fe208aaa96edf142730f1d)"
	.section	".note.GNU-stack","",@progbits
	.addrsig
	.addrsig_sym __hip_cuid_2955c7c7639d9191
	.amdgpu_metadata
---
amdhsa.kernels:
  - .args:
      - .actual_access:  read_only
        .address_space:  global
        .offset:         0
        .size:           8
        .value_kind:     global_buffer
      - .offset:         8
        .size:           8
        .value_kind:     by_value
      - .actual_access:  read_only
        .address_space:  global
        .offset:         16
        .size:           8
        .value_kind:     global_buffer
      - .actual_access:  read_only
        .address_space:  global
        .offset:         24
        .size:           8
        .value_kind:     global_buffer
      - .actual_access:  read_only
        .address_space:  global
        .offset:         32
        .size:           8
        .value_kind:     global_buffer
      - .offset:         40
        .size:           8
        .value_kind:     by_value
      - .actual_access:  read_only
        .address_space:  global
        .offset:         48
        .size:           8
        .value_kind:     global_buffer
      - .actual_access:  read_only
        .address_space:  global
        .offset:         56
        .size:           8
        .value_kind:     global_buffer
      - .offset:         64
        .size:           4
        .value_kind:     by_value
      - .actual_access:  read_only
        .address_space:  global
        .offset:         72
        .size:           8
        .value_kind:     global_buffer
      - .actual_access:  read_only
        .address_space:  global
        .offset:         80
        .size:           8
        .value_kind:     global_buffer
      - .actual_access:  read_only
        .address_space:  global
        .offset:         88
        .size:           8
        .value_kind:     global_buffer
      - .actual_access:  write_only
        .address_space:  global
        .offset:         96
        .size:           8
        .value_kind:     global_buffer
    .group_segment_fixed_size: 0
    .kernarg_segment_align: 8
    .kernarg_segment_size: 104
    .language:       OpenCL C
    .language_version:
      - 2
      - 0
    .max_flat_workgroup_size: 110
    .name:           fft_rtc_fwd_len1210_factors_2_5_11_11_wgs_110_tpt_110_halfLds_sp_op_CI_CI_unitstride_sbrr_C2R_dirReg
    .private_segment_fixed_size: 0
    .sgpr_count:     29
    .sgpr_spill_count: 0
    .symbol:         fft_rtc_fwd_len1210_factors_2_5_11_11_wgs_110_tpt_110_halfLds_sp_op_CI_CI_unitstride_sbrr_C2R_dirReg.kd
    .uniform_work_group_size: 1
    .uses_dynamic_stack: false
    .vgpr_count:     128
    .vgpr_spill_count: 0
    .wavefront_size: 32
    .workgroup_processor_mode: 1
amdhsa.target:   amdgcn-amd-amdhsa--gfx1030
amdhsa.version:
  - 1
  - 2
...

	.end_amdgpu_metadata
